;; amdgpu-corpus repo=ROCm/rocFFT kind=compiled arch=gfx906 opt=O3
	.text
	.amdgcn_target "amdgcn-amd-amdhsa--gfx906"
	.amdhsa_code_object_version 6
	.protected	bluestein_single_back_len49_dim1_sp_op_CI_CI ; -- Begin function bluestein_single_back_len49_dim1_sp_op_CI_CI
	.globl	bluestein_single_back_len49_dim1_sp_op_CI_CI
	.p2align	8
	.type	bluestein_single_back_len49_dim1_sp_op_CI_CI,@function
bluestein_single_back_len49_dim1_sp_op_CI_CI: ; @bluestein_single_back_len49_dim1_sp_op_CI_CI
; %bb.0:
	v_mul_u32_u24_e32 v1, 0x2493, v0
	s_load_dwordx4 s[12:15], s[4:5], 0x28
	v_lshrrev_b32_e32 v1, 16, v1
	v_mad_u64_u32 v[12:13], s[0:1], s6, 9, v[1:2]
	v_mov_b32_e32 v13, 0
	s_waitcnt lgkmcnt(0)
	v_cmp_gt_u64_e32 vcc, s[12:13], v[12:13]
	s_and_saveexec_b64 s[0:1], vcc
	s_cbranch_execz .LBB0_2
; %bb.1:
	s_load_dwordx4 s[0:3], s[4:5], 0x18
	s_load_dwordx4 s[8:11], s[4:5], 0x0
	v_mul_lo_u16_e32 v1, 7, v1
	v_sub_u16_e32 v28, v0, v1
	v_mov_b32_e32 v7, s15
	s_waitcnt lgkmcnt(0)
	s_load_dwordx4 s[16:19], s[0:1], 0x0
	s_add_u32 s6, s8, 0x188
	s_addc_u32 s7, s9, 0
	v_lshlrev_b32_e32 v29, 3, v28
	global_load_dwordx2 v[23:24], v29, s[8:9]
	s_waitcnt lgkmcnt(0)
	v_mad_u64_u32 v[0:1], s[0:1], s18, v12, 0
	v_mad_u64_u32 v[2:3], s[0:1], s16, v28, 0
	s_mov_b32 s13, 0x3f3bfb3b
	s_mov_b32 s12, 0xbf3bfb3b
	v_mad_u64_u32 v[4:5], s[0:1], s19, v12, v[1:2]
	v_mad_u64_u32 v[5:6], s[0:1], s17, v28, v[3:4]
	v_mov_b32_e32 v1, v4
	v_lshlrev_b64 v[0:1], 3, v[0:1]
	v_mov_b32_e32 v3, v5
	v_add_co_u32_e32 v4, vcc, s14, v0
	v_addc_co_u32_e32 v5, vcc, v7, v1, vcc
	v_lshlrev_b64 v[0:1], 3, v[2:3]
	s_mul_i32 s0, s17, 56
	v_add_co_u32_e32 v0, vcc, v4, v0
	s_mul_hi_u32 s1, s16, 56
	v_addc_co_u32_e32 v1, vcc, v5, v1, vcc
	s_add_i32 s0, s1, s0
	s_mul_i32 s1, s16, 56
	global_load_dwordx2 v[2:3], v[0:1], off
	v_mov_b32_e32 v4, s0
	v_add_co_u32_e32 v0, vcc, s1, v0
	v_addc_co_u32_e32 v1, vcc, v1, v4, vcc
	v_mov_b32_e32 v5, s0
	v_add_co_u32_e32 v4, vcc, s1, v0
	v_addc_co_u32_e32 v5, vcc, v1, v5, vcc
	global_load_dwordx2 v[6:7], v[0:1], off
	global_load_dwordx2 v[8:9], v[4:5], off
	v_mov_b32_e32 v1, s0
	v_add_co_u32_e32 v0, vcc, s1, v4
	v_addc_co_u32_e32 v1, vcc, v5, v1, vcc
	v_mov_b32_e32 v5, s0
	v_add_co_u32_e32 v4, vcc, s1, v0
	v_addc_co_u32_e32 v5, vcc, v1, v5, vcc
	global_load_dwordx2 v[25:26], v29, s[8:9] offset:56
	global_load_dwordx2 v[21:22], v29, s[8:9] offset:112
	;; [unrolled: 1-line block ×3, first 2 shown]
	global_load_dwordx2 v[10:11], v[0:1], off
	global_load_dwordx2 v[30:31], v[4:5], off
	global_load_dwordx2 v[17:18], v29, s[8:9] offset:224
	v_mov_b32_e32 v1, s0
	v_add_co_u32_e32 v0, vcc, s1, v4
	v_addc_co_u32_e32 v1, vcc, v5, v1, vcc
	global_load_dwordx2 v[4:5], v[0:1], off
	global_load_dwordx2 v[15:16], v29, s[8:9] offset:280
	v_mov_b32_e32 v13, s0
	v_add_co_u32_e32 v0, vcc, s1, v0
	v_addc_co_u32_e32 v1, vcc, v1, v13, vcc
	global_load_dwordx2 v[13:14], v29, s[8:9] offset:336
	global_load_dwordx2 v[32:33], v[0:1], off
	s_mov_b32 s0, 0x38e38e39
	v_mul_hi_u32 v0, v12, s0
	s_load_dwordx4 s[0:3], s[2:3], 0x0
	s_mov_b32 s14, 0x3f5ff5aa
	v_lshrrev_b32_e32 v0, 1, v0
	v_lshl_add_u32 v0, v0, 3, v0
	v_sub_u32_e32 v0, v12, v0
	v_mul_u32_u24_e32 v0, 49, v0
	v_lshlrev_b32_e32 v34, 3, v0
	v_add_u32_e32 v27, v29, v34
	s_waitcnt vmcnt(12)
	v_mul_f32_e32 v0, v3, v24
	v_mul_f32_e32 v1, v2, v24
	v_fmac_f32_e32 v0, v2, v23
	v_fma_f32 v1, v3, v23, -v1
	s_waitcnt vmcnt(9)
	v_mul_f32_e32 v2, v7, v26
	v_mul_f32_e32 v3, v6, v26
	v_fmac_f32_e32 v2, v6, v25
	v_fma_f32 v3, v7, v25, -v3
	s_waitcnt vmcnt(8)
	v_mul_f32_e32 v6, v9, v22
	v_mul_f32_e32 v7, v8, v22
	ds_write2_b64 v27, v[0:1], v[2:3] offset1:7
	s_waitcnt vmcnt(6)
	v_mul_f32_e32 v0, v11, v20
	v_mul_f32_e32 v1, v10, v20
	v_fmac_f32_e32 v6, v8, v21
	v_fma_f32 v7, v9, v21, -v7
	v_fmac_f32_e32 v0, v10, v19
	v_fma_f32 v1, v11, v19, -v1
	s_waitcnt vmcnt(4)
	v_mul_f32_e32 v2, v31, v18
	v_mul_f32_e32 v3, v30, v18
	ds_write2_b64 v27, v[6:7], v[0:1] offset0:14 offset1:21
	s_waitcnt vmcnt(2)
	v_mul_f32_e32 v0, v5, v16
	v_mul_f32_e32 v1, v4, v16
	v_fmac_f32_e32 v2, v30, v17
	v_fma_f32 v3, v31, v17, -v3
	v_fmac_f32_e32 v0, v4, v15
	v_fma_f32 v1, v5, v15, -v1
	ds_write2_b64 v27, v[2:3], v[0:1] offset0:28 offset1:35
	s_waitcnt vmcnt(0)
	v_mul_f32_e32 v0, v33, v14
	v_mul_f32_e32 v1, v32, v14
	v_fmac_f32_e32 v0, v32, v13
	v_fma_f32 v1, v33, v13, -v1
	ds_write_b64 v27, v[0:1] offset:336
	s_waitcnt lgkmcnt(0)
	; wave barrier
	s_waitcnt lgkmcnt(0)
	ds_read2_b64 v[0:3], v27 offset1:7
	ds_read_b64 v[30:31], v27 offset:336
	ds_read2_b64 v[4:7], v27 offset0:14 offset1:21
	ds_read2_b64 v[8:11], v27 offset0:28 offset1:35
	s_waitcnt lgkmcnt(0)
	; wave barrier
	s_waitcnt lgkmcnt(0)
	v_add_f32_e32 v32, v2, v30
	v_sub_f32_e32 v2, v2, v30
	v_add_f32_e32 v30, v4, v10
	v_add_f32_e32 v33, v3, v31
	v_sub_f32_e32 v3, v3, v31
	v_add_f32_e32 v31, v5, v11
	v_sub_f32_e32 v4, v4, v10
	;; [unrolled: 2-line block ×5, first 2 shown]
	v_add_f32_e32 v9, v31, v33
	v_add_f32_e32 v8, v10, v8
	;; [unrolled: 1-line block ×4, first 2 shown]
	v_sub_f32_e32 v35, v30, v32
	v_sub_f32_e32 v36, v31, v33
	;; [unrolled: 1-line block ×6, first 2 shown]
	v_add_f32_e32 v37, v6, v4
	v_add_f32_e32 v38, v7, v5
	v_sub_f32_e32 v39, v6, v4
	v_sub_f32_e32 v40, v7, v5
	;; [unrolled: 1-line block ×4, first 2 shown]
	v_add_f32_e32 v1, v9, v1
	v_mov_b32_e32 v41, v0
	v_sub_f32_e32 v6, v2, v6
	v_sub_f32_e32 v7, v3, v7
	v_add_f32_e32 v2, v37, v2
	v_add_f32_e32 v3, v38, v3
	v_mul_f32_e32 v10, 0x3f4a47b2, v32
	v_mul_f32_e32 v11, 0x3f4a47b2, v33
	;; [unrolled: 1-line block ×8, first 2 shown]
	v_fmac_f32_e32 v41, 0xbf955555, v8
	v_mov_b32_e32 v8, v1
	v_fmac_f32_e32 v8, 0xbf955555, v9
	v_fma_f32 v9, v35, s13, -v32
	v_fma_f32 v32, v36, s13, -v33
	v_fma_f32 v33, v35, s12, -v10
	v_fmac_f32_e32 v10, 0x3d64c772, v30
	v_fma_f32 v30, v36, s12, -v11
	v_fmac_f32_e32 v11, 0x3d64c772, v31
	v_fma_f32 v31, v4, s14, -v37
	v_fma_f32 v35, v5, s14, -v38
	v_fmac_f32_e32 v39, 0xbeae86e6, v6
	v_fmac_f32_e32 v40, 0xbeae86e6, v7
	v_add_f32_e32 v36, v10, v41
	v_add_f32_e32 v42, v11, v8
	;; [unrolled: 1-line block ×6, first 2 shown]
	v_fmac_f32_e32 v31, 0x3ee1c552, v2
	v_fmac_f32_e32 v35, 0x3ee1c552, v3
	;; [unrolled: 1-line block ×6, first 2 shown]
	v_add_f32_e32 v4, v40, v11
	v_sub_f32_e32 v5, v30, v39
	v_sub_f32_e32 v6, v9, v35
	v_add_f32_e32 v7, v31, v10
	v_add_f32_e32 v8, v35, v9
	v_sub_f32_e32 v9, v10, v31
	v_sub_f32_e32 v10, v11, v40
	v_add_f32_e32 v11, v39, v30
	v_mul_lo_u16_e32 v30, 7, v28
	v_fmac_f32_e32 v37, 0x3ee1c552, v2
	v_fmac_f32_e32 v38, 0x3ee1c552, v3
	v_lshl_add_u32 v30, v30, 3, v34
	v_add_f32_e32 v2, v36, v38
	v_sub_f32_e32 v3, v42, v37
	v_sub_f32_e32 v31, v36, v38
	v_add_f32_e32 v32, v37, v42
	ds_write_b64 v30, v[0:1]
	ds_write2_b64 v30, v[2:3], v[4:5] offset0:1 offset1:2
	ds_write2_b64 v30, v[6:7], v[8:9] offset0:3 offset1:4
	;; [unrolled: 1-line block ×3, first 2 shown]
	v_mul_u32_u24_e32 v0, 6, v28
	v_lshlrev_b32_e32 v31, 3, v0
	s_waitcnt lgkmcnt(0)
	; wave barrier
	s_waitcnt lgkmcnt(0)
	global_load_dwordx4 v[8:11], v31, s[10:11]
	global_load_dwordx4 v[4:7], v31, s[10:11] offset:16
	global_load_dwordx4 v[0:3], v31, s[10:11] offset:32
	ds_read2_b64 v[31:34], v27 offset0:14 offset1:21
	ds_read2_b64 v[35:38], v27 offset0:28 offset1:35
	s_waitcnt vmcnt(2) lgkmcnt(1)
	v_mul_f32_e32 v39, v32, v11
	v_fma_f32 v39, v31, v10, -v39
	v_mul_f32_e32 v40, v31, v11
	s_waitcnt vmcnt(1)
	v_mul_f32_e32 v31, v34, v5
	v_fma_f32 v41, v33, v4, -v31
	s_waitcnt lgkmcnt(0)
	v_mul_f32_e32 v31, v36, v7
	v_mul_f32_e32 v44, v35, v7
	v_fma_f32 v43, v35, v6, -v31
	v_fmac_f32_e32 v44, v36, v6
	ds_read_b64 v[35:36], v27 offset:336
	v_mul_f32_e32 v42, v33, v5
	s_waitcnt vmcnt(0)
	v_mul_f32_e32 v31, v38, v1
	v_fmac_f32_e32 v40, v32, v10
	v_fmac_f32_e32 v42, v34, v4
	v_fma_f32 v45, v37, v0, -v31
	ds_read2_b64 v[31:34], v27 offset1:7
	v_mul_f32_e32 v37, v37, v1
	v_fmac_f32_e32 v37, v38, v0
	s_waitcnt lgkmcnt(1)
	v_mul_f32_e32 v38, v36, v3
	v_fma_f32 v38, v35, v2, -v38
	v_mul_f32_e32 v35, v35, v3
	v_fmac_f32_e32 v35, v36, v2
	s_waitcnt lgkmcnt(0)
	v_mul_f32_e32 v36, v34, v9
	v_fma_f32 v36, v33, v8, -v36
	v_mul_f32_e32 v33, v33, v9
	v_fmac_f32_e32 v33, v34, v8
	v_add_f32_e32 v34, v36, v38
	v_add_f32_e32 v46, v39, v45
	;; [unrolled: 1-line block ×9, first 2 shown]
	v_sub_f32_e32 v36, v36, v38
	v_sub_f32_e32 v33, v33, v35
	v_sub_f32_e32 v35, v39, v45
	v_sub_f32_e32 v38, v43, v41
	v_add_f32_e32 v52, v51, v52
	v_add_f32_e32 v31, v48, v31
	v_sub_f32_e32 v37, v40, v37
	v_sub_f32_e32 v39, v44, v42
	v_add_f32_e32 v45, v38, v35
	v_add_f32_e32 v32, v52, v32
	v_sub_f32_e32 v40, v46, v34
	v_sub_f32_e32 v34, v34, v47
	;; [unrolled: 1-line block ×8, first 2 shown]
	v_add_f32_e32 v36, v45, v36
	v_add_f32_e32 v45, v39, v37
	v_sub_f32_e32 v47, v39, v37
	v_mov_b32_e32 v49, v31
	v_sub_f32_e32 v44, v51, v50
	v_sub_f32_e32 v39, v33, v39
	;; [unrolled: 1-line block ×3, first 2 shown]
	v_add_f32_e32 v45, v45, v33
	v_fmac_f32_e32 v49, 0xbf955555, v48
	v_mov_b32_e32 v48, v32
	v_mul_f32_e32 v33, 0x3f4a47b2, v34
	v_mul_f32_e32 v34, 0x3f4a47b2, v43
	;; [unrolled: 1-line block ×4, first 2 shown]
	v_fmac_f32_e32 v48, 0xbf955555, v52
	v_fma_f32 v47, v40, s12, -v33
	v_fmac_f32_e32 v33, 0x3d64c772, v41
	v_fma_f32 v50, v42, s12, -v34
	;; [unrolled: 2-line block ×4, first 2 shown]
	v_fmac_f32_e32 v46, 0x3eae86e6, v39
	v_add_f32_e32 v53, v33, v49
	v_add_f32_e32 v54, v34, v48
	v_fmac_f32_e32 v43, 0x3ee1c552, v36
	v_fmac_f32_e32 v46, 0x3ee1c552, v45
	v_add_f32_e32 v33, v46, v53
	v_sub_f32_e32 v34, v54, v43
	ds_write2_b64 v27, v[31:32], v[33:34] offset1:7
	v_mul_f32_e32 v31, 0x3d64c772, v41
	v_fma_f32 v31, v40, s13, -v31
	v_mul_f32_e32 v32, 0x3d64c772, v44
	v_mul_f32_e32 v40, 0xbf5ff5aa, v35
	;; [unrolled: 1-line block ×3, first 2 shown]
	v_fma_f32 v32, v42, s13, -v32
	v_fmac_f32_e32 v40, 0xbeae86e6, v38
	v_fmac_f32_e32 v37, 0xbeae86e6, v39
	v_add_f32_e32 v33, v31, v49
	v_add_f32_e32 v34, v32, v48
	v_fmac_f32_e32 v51, 0x3ee1c552, v36
	v_fmac_f32_e32 v52, 0x3ee1c552, v45
	v_add_f32_e32 v38, v47, v49
	v_add_f32_e32 v39, v50, v48
	v_fmac_f32_e32 v40, 0x3ee1c552, v36
	v_fmac_f32_e32 v37, 0x3ee1c552, v45
	v_sub_f32_e32 v31, v33, v52
	v_add_f32_e32 v32, v51, v34
	v_add_f32_e32 v35, v37, v38
	v_sub_f32_e32 v36, v39, v40
	v_sub_f32_e32 v37, v38, v37
	v_add_f32_e32 v38, v40, v39
	v_sub_f32_e32 v39, v53, v46
	v_add_f32_e32 v40, v43, v54
	v_add_f32_e32 v33, v52, v33
	v_sub_f32_e32 v34, v34, v51
	ds_write2_b64 v27, v[35:36], v[31:32] offset0:14 offset1:21
	ds_write2_b64 v27, v[33:34], v[37:38] offset0:28 offset1:35
	ds_write_b64 v27, v[39:40] offset:336
	s_waitcnt lgkmcnt(0)
	; wave barrier
	s_waitcnt lgkmcnt(0)
	global_load_dwordx2 v[35:36], v29, s[8:9] offset:392
	global_load_dwordx2 v[39:40], v29, s[6:7] offset:56
	;; [unrolled: 1-line block ×7, first 2 shown]
	ds_read2_b64 v[31:34], v27 offset1:7
	s_mov_b32 s6, 0xbf5ff5aa
	s_waitcnt vmcnt(6) lgkmcnt(0)
	v_mul_f32_e32 v29, v32, v36
	v_mul_f32_e32 v52, v31, v36
	v_fma_f32 v51, v31, v35, -v29
	v_fmac_f32_e32 v52, v32, v35
	ds_read2_b64 v[35:38], v27 offset0:14 offset1:21
	s_waitcnt vmcnt(5)
	v_mul_f32_e32 v29, v34, v40
	v_mul_f32_e32 v54, v33, v40
	v_fma_f32 v53, v33, v39, -v29
	v_fmac_f32_e32 v54, v34, v39
	ds_read2_b64 v[31:34], v27 offset0:28 offset1:35
	s_waitcnt vmcnt(4) lgkmcnt(1)
	v_mul_f32_e32 v29, v36, v42
	v_mul_f32_e32 v40, v35, v42
	v_fma_f32 v39, v35, v41, -v29
	v_fmac_f32_e32 v40, v36, v41
	ds_read_b64 v[41:42], v27 offset:336
	s_waitcnt vmcnt(3)
	v_mul_f32_e32 v36, v37, v44
	v_mul_f32_e32 v29, v38, v44
	v_fmac_f32_e32 v36, v38, v43
	s_waitcnt vmcnt(2) lgkmcnt(1)
	v_mul_f32_e32 v38, v31, v46
	v_fma_f32 v35, v37, v43, -v29
	v_mul_f32_e32 v29, v32, v46
	v_fmac_f32_e32 v38, v32, v45
	s_waitcnt vmcnt(1)
	v_mul_f32_e32 v32, v33, v48
	v_fma_f32 v37, v31, v45, -v29
	v_mul_f32_e32 v29, v34, v48
	v_fmac_f32_e32 v32, v34, v47
	v_fma_f32 v31, v33, v47, -v29
	ds_write2_b64 v27, v[51:52], v[53:54] offset1:7
	ds_write2_b64 v27, v[39:40], v[35:36] offset0:14 offset1:21
	ds_write2_b64 v27, v[37:38], v[31:32] offset0:28 offset1:35
	s_waitcnt vmcnt(0) lgkmcnt(3)
	v_mul_f32_e32 v29, v42, v50
	v_mul_f32_e32 v32, v41, v50
	v_fma_f32 v31, v41, v49, -v29
	v_fmac_f32_e32 v32, v42, v49
	ds_write_b64 v27, v[31:32] offset:336
	s_waitcnt lgkmcnt(0)
	; wave barrier
	s_waitcnt lgkmcnt(0)
	ds_read2_b64 v[31:34], v27 offset0:14 offset1:21
	ds_read2_b64 v[35:38], v27 offset0:28 offset1:35
	s_waitcnt lgkmcnt(0)
	v_add_f32_e32 v29, v31, v37
	v_add_f32_e32 v41, v32, v38
	v_sub_f32_e32 v42, v31, v37
	v_sub_f32_e32 v43, v32, v38
	ds_read2_b64 v[37:40], v27 offset1:7
	ds_read_b64 v[31:32], v27 offset:336
	v_add_f32_e32 v44, v33, v35
	v_add_f32_e32 v45, v34, v36
	v_sub_f32_e32 v46, v35, v33
	v_sub_f32_e32 v47, v36, v34
	s_waitcnt lgkmcnt(0)
	v_add_f32_e32 v48, v39, v31
	v_add_f32_e32 v49, v40, v32
	v_sub_f32_e32 v39, v39, v31
	v_add_f32_e32 v31, v29, v48
	v_add_f32_e32 v33, v44, v31
	;; [unrolled: 1-line block ×4, first 2 shown]
	v_sub_f32_e32 v40, v40, v32
	v_add_f32_e32 v31, v33, v37
	v_add_f32_e32 v32, v34, v38
	v_mov_b32_e32 v50, v31
	v_mov_b32_e32 v51, v32
	v_fmac_f32_e32 v50, 0xbf955555, v33
	v_fmac_f32_e32 v51, 0xbf955555, v34
	v_sub_f32_e32 v37, v29, v48
	v_sub_f32_e32 v29, v44, v29
	;; [unrolled: 1-line block ×4, first 2 shown]
	v_add_f32_e32 v33, v46, v42
	v_sub_f32_e32 v34, v46, v42
	v_sub_f32_e32 v36, v47, v43
	;; [unrolled: 1-line block ×3, first 2 shown]
	v_add_f32_e32 v35, v47, v43
	v_sub_f32_e32 v43, v43, v40
	v_add_f32_e32 v52, v33, v39
	v_mul_f32_e32 v54, 0x3f08b237, v34
	v_mul_f32_e32 v55, 0x3f08b237, v36
	;; [unrolled: 1-line block ×4, first 2 shown]
	v_sub_f32_e32 v44, v48, v44
	v_sub_f32_e32 v45, v49, v45
	v_add_f32_e32 v53, v35, v40
	v_fma_f32 v33, v37, s13, -v33
	v_fma_f32 v34, v38, s13, -v34
	v_fma_f32 v56, v42, s6, -v54
	v_fma_f32 v57, v43, s6, -v55
	v_sub_f32_e32 v46, v39, v46
	v_sub_f32_e32 v47, v40, v47
	v_mul_f32_e32 v44, 0x3f4a47b2, v44
	v_mul_f32_e32 v45, 0x3f4a47b2, v45
	;; [unrolled: 1-line block ×4, first 2 shown]
	v_add_f32_e32 v35, v33, v50
	v_add_f32_e32 v36, v34, v51
	v_fmac_f32_e32 v56, 0xbee1c552, v52
	v_fmac_f32_e32 v57, 0xbee1c552, v53
	v_fma_f32 v37, v37, s12, -v44
	v_fma_f32 v38, v38, s12, -v45
	v_fmac_f32_e32 v40, 0x3eae86e6, v46
	v_fmac_f32_e32 v39, 0x3eae86e6, v47
	;; [unrolled: 1-line block ×6, first 2 shown]
	v_sub_f32_e32 v33, v35, v57
	v_add_f32_e32 v34, v56, v36
	v_add_f32_e32 v35, v57, v35
	v_sub_f32_e32 v36, v36, v56
	v_add_f32_e32 v42, v37, v50
	v_add_f32_e32 v43, v38, v51
	v_fmac_f32_e32 v40, 0xbee1c552, v52
	v_fmac_f32_e32 v39, 0xbee1c552, v53
	v_add_f32_e32 v29, v44, v50
	v_add_f32_e32 v44, v45, v51
	v_fmac_f32_e32 v54, 0xbee1c552, v52
	v_fmac_f32_e32 v55, 0xbee1c552, v53
	v_add_f32_e32 v37, v39, v42
	v_sub_f32_e32 v38, v43, v40
	v_sub_f32_e32 v39, v42, v39
	v_add_f32_e32 v40, v40, v43
	v_add_f32_e32 v41, v29, v55
	v_sub_f32_e32 v42, v44, v54
	v_sub_f32_e32 v43, v29, v55
	v_add_f32_e32 v44, v54, v44
	s_waitcnt lgkmcnt(0)
	; wave barrier
	ds_write_b64 v30, v[31:32]
	ds_write2_b64 v30, v[41:42], v[37:38] offset0:1 offset1:2
	ds_write2_b64 v30, v[33:34], v[35:36] offset0:3 offset1:4
	;; [unrolled: 1-line block ×3, first 2 shown]
	s_waitcnt lgkmcnt(0)
	; wave barrier
	s_waitcnt lgkmcnt(0)
	ds_read2_b64 v[29:32], v27 offset1:7
	ds_read2_b64 v[33:36], v27 offset0:14 offset1:21
	s_waitcnt lgkmcnt(1)
	v_mul_f32_e32 v37, v9, v32
	v_mul_f32_e32 v9, v9, v31
	v_fmac_f32_e32 v37, v8, v31
	v_fma_f32 v31, v8, v32, -v9
	s_waitcnt lgkmcnt(0)
	v_mul_f32_e32 v32, v11, v34
	v_mul_f32_e32 v8, v11, v33
	v_fmac_f32_e32 v32, v10, v33
	v_fma_f32 v33, v10, v34, -v8
	ds_read2_b64 v[8:11], v27 offset0:28 offset1:35
	v_mul_f32_e32 v34, v5, v36
	v_mul_f32_e32 v5, v5, v35
	v_fmac_f32_e32 v34, v4, v35
	v_fma_f32 v35, v4, v36, -v5
	s_waitcnt lgkmcnt(0)
	v_mul_f32_e32 v36, v7, v9
	v_mul_f32_e32 v7, v7, v8
	v_fmac_f32_e32 v36, v6, v8
	v_fma_f32 v8, v6, v9, -v7
	ds_read_b64 v[6:7], v27 offset:336
	v_mul_f32_e32 v9, v1, v11
	v_mul_f32_e32 v1, v1, v10
	v_fmac_f32_e32 v9, v0, v10
	v_fma_f32 v0, v0, v11, -v1
	s_waitcnt lgkmcnt(0)
	v_mul_f32_e32 v1, v3, v7
	v_fmac_f32_e32 v1, v2, v6
	v_mul_f32_e32 v3, v3, v6
	v_fma_f32 v2, v2, v7, -v3
	v_add_f32_e32 v3, v37, v1
	v_add_f32_e32 v7, v32, v9
	;; [unrolled: 1-line block ×4, first 2 shown]
	v_sub_f32_e32 v0, v33, v0
	v_add_f32_e32 v11, v34, v36
	v_add_f32_e32 v33, v7, v3
	v_sub_f32_e32 v2, v31, v2
	v_sub_f32_e32 v9, v32, v9
	v_add_f32_e32 v31, v35, v8
	v_sub_f32_e32 v32, v36, v34
	v_sub_f32_e32 v8, v8, v35
	v_add_f32_e32 v34, v10, v6
	v_sub_f32_e32 v35, v7, v3
	v_sub_f32_e32 v3, v3, v11
	v_sub_f32_e32 v7, v11, v7
	v_add_f32_e32 v11, v11, v33
	v_sub_f32_e32 v1, v37, v1
	v_sub_f32_e32 v36, v10, v6
	;; [unrolled: 1-line block ×4, first 2 shown]
	v_add_f32_e32 v37, v32, v9
	v_add_f32_e32 v38, v8, v0
	v_sub_f32_e32 v40, v8, v0
	v_sub_f32_e32 v41, v0, v2
	v_add_f32_e32 v31, v31, v34
	v_add_f32_e32 v0, v11, v29
	v_sub_f32_e32 v39, v32, v9
	v_sub_f32_e32 v32, v1, v32
	;; [unrolled: 1-line block ×3, first 2 shown]
	v_add_f32_e32 v33, v37, v1
	v_add_f32_e32 v1, v31, v30
	v_mul_f32_e32 v37, 0x3f08b237, v40
	v_mov_b32_e32 v40, v0
	v_sub_f32_e32 v8, v2, v8
	v_mul_f32_e32 v3, 0x3f4a47b2, v3
	v_mul_f32_e32 v6, 0x3f4a47b2, v6
	;; [unrolled: 1-line block ×4, first 2 shown]
	v_fmac_f32_e32 v40, 0xbf955555, v11
	v_mov_b32_e32 v11, v1
	v_add_f32_e32 v2, v38, v2
	v_mul_f32_e32 v30, 0x3d64c772, v10
	v_mul_f32_e32 v38, 0x3f5ff5aa, v9
	;; [unrolled: 1-line block ×3, first 2 shown]
	v_fmac_f32_e32 v11, 0xbf955555, v31
	v_fma_f32 v29, v35, s13, -v29
	v_fma_f32 v31, v35, s12, -v3
	v_fmac_f32_e32 v3, 0x3d64c772, v7
	v_fma_f32 v7, v36, s12, -v6
	v_fmac_f32_e32 v6, 0x3d64c772, v10
	;; [unrolled: 2-line block ×5, first 2 shown]
	v_fmac_f32_e32 v39, 0x3eae86e6, v8
	v_add_f32_e32 v32, v3, v40
	v_add_f32_e32 v36, v6, v11
	v_fmac_f32_e32 v34, 0xbee1c552, v33
	v_fmac_f32_e32 v37, 0xbee1c552, v2
	v_add_f32_e32 v29, v29, v40
	v_add_f32_e32 v30, v30, v11
	;; [unrolled: 1-line block ×4, first 2 shown]
	v_fmac_f32_e32 v35, 0xbee1c552, v33
	v_fmac_f32_e32 v10, 0xbee1c552, v2
	;; [unrolled: 1-line block ×4, first 2 shown]
	v_add_f32_e32 v2, v37, v32
	v_sub_f32_e32 v3, v36, v34
	v_add_f32_e32 v6, v39, v31
	v_sub_f32_e32 v7, v40, v38
	v_sub_f32_e32 v8, v29, v10
	v_add_f32_e32 v9, v35, v30
	v_add_f32_e32 v10, v10, v29
	v_sub_f32_e32 v11, v30, v35
	v_sub_f32_e32 v29, v31, v39
	v_add_f32_e32 v30, v38, v40
	v_sub_f32_e32 v31, v32, v37
	v_add_f32_e32 v32, v34, v36
	ds_write2_b64 v27, v[0:1], v[2:3] offset1:7
	ds_write2_b64 v27, v[6:7], v[8:9] offset0:14 offset1:21
	ds_write2_b64 v27, v[10:11], v[29:30] offset0:28 offset1:35
	ds_write_b64 v27, v[31:32] offset:336
	s_waitcnt lgkmcnt(0)
	; wave barrier
	s_waitcnt lgkmcnt(0)
	ds_read2_b64 v[0:3], v27 offset1:7
	s_load_dwordx2 s[6:7], s[4:5], 0x38
	s_mov_b32 s4, 0xa72f0539
	s_mov_b32 s5, 0x3f94e5e0
	v_mad_u64_u32 v[4:5], s[8:9], s2, v12, 0
	s_waitcnt lgkmcnt(0)
	v_mul_f32_e32 v6, v24, v1
	v_fmac_f32_e32 v6, v23, v0
	v_cvt_f64_f32_e32 v[6:7], v6
	v_mul_f32_e32 v0, v24, v0
	v_fma_f32 v0, v23, v1, -v0
	v_cvt_f64_f32_e32 v[0:1], v0
	v_mul_f64 v[6:7], v[6:7], s[4:5]
	v_mad_u64_u32 v[8:9], s[8:9], s0, v28, 0
	v_mul_f64 v[0:1], v[0:1], s[4:5]
	v_mad_u64_u32 v[10:11], s[2:3], s3, v12, v[5:6]
	v_mov_b32_e32 v5, v9
	v_mad_u64_u32 v[11:12], s[2:3], s1, v28, v[5:6]
	v_mov_b32_e32 v5, v10
	v_cvt_f32_f64_e32 v6, v[6:7]
	v_cvt_f32_f64_e32 v7, v[0:1]
	v_lshlrev_b64 v[0:1], 3, v[4:5]
	v_mul_f32_e32 v4, v26, v3
	v_fmac_f32_e32 v4, v25, v2
	v_mul_f32_e32 v2, v26, v2
	v_fma_f32 v2, v25, v3, -v2
	v_mov_b32_e32 v9, v11
	v_mov_b32_e32 v10, s7
	v_cvt_f64_f32_e32 v[2:3], v2
	v_add_co_u32_e32 v11, vcc, s6, v0
	v_addc_co_u32_e32 v12, vcc, v10, v1, vcc
	v_lshlrev_b64 v[0:1], 3, v[8:9]
	v_mul_f64 v[8:9], v[2:3], s[4:5]
	v_add_co_u32_e32 v10, vcc, v11, v0
	v_addc_co_u32_e32 v11, vcc, v12, v1, vcc
	ds_read2_b64 v[0:3], v27 offset0:14 offset1:21
	v_cvt_f64_f32_e32 v[4:5], v4
	global_store_dwordx2 v[10:11], v[6:7], off
	s_mul_i32 s1, s1, 56
	s_mul_hi_u32 s2, s0, 56
	s_waitcnt lgkmcnt(0)
	v_mul_f32_e32 v6, v22, v1
	v_fmac_f32_e32 v6, v21, v0
	v_mul_f32_e32 v0, v22, v0
	v_fma_f32 v0, v21, v1, -v0
	v_mul_f64 v[4:5], v[4:5], s[4:5]
	v_cvt_f64_f32_e32 v[0:1], v0
	v_cvt_f64_f32_e32 v[6:7], v6
	s_add_i32 s1, s2, s1
	s_mul_i32 s0, s0, 56
	v_mul_f64 v[0:1], v[0:1], s[4:5]
	v_mul_f64 v[6:7], v[6:7], s[4:5]
	v_mov_b32_e32 v12, s1
	v_cvt_f32_f64_e32 v4, v[4:5]
	v_cvt_f32_f64_e32 v5, v[8:9]
	v_mov_b32_e32 v9, s1
	v_add_co_u32_e32 v8, vcc, s0, v10
	v_addc_co_u32_e32 v9, vcc, v11, v9, vcc
	global_store_dwordx2 v[8:9], v[4:5], off
	v_cvt_f32_f64_e32 v5, v[0:1]
	v_mul_f32_e32 v0, v20, v3
	v_fmac_f32_e32 v0, v19, v2
	v_cvt_f32_f64_e32 v4, v[6:7]
	v_cvt_f64_f32_e32 v[6:7], v0
	v_mul_f32_e32 v0, v20, v2
	v_fma_f32 v0, v19, v3, -v0
	v_cvt_f64_f32_e32 v[10:11], v0
	ds_read2_b64 v[0:3], v27 offset0:28 offset1:35
	v_add_co_u32_e32 v8, vcc, s0, v8
	v_addc_co_u32_e32 v9, vcc, v9, v12, vcc
	global_store_dwordx2 v[8:9], v[4:5], off
	v_mul_f64 v[4:5], v[6:7], s[4:5]
	v_mul_f64 v[6:7], v[10:11], s[4:5]
	s_waitcnt lgkmcnt(0)
	v_mul_f32_e32 v10, v18, v1
	v_fmac_f32_e32 v10, v17, v0
	v_mul_f32_e32 v0, v18, v0
	v_fma_f32 v0, v17, v1, -v0
	v_cvt_f64_f32_e32 v[0:1], v0
	v_cvt_f64_f32_e32 v[10:11], v10
	v_cvt_f32_f64_e32 v4, v[4:5]
	v_cvt_f32_f64_e32 v5, v[6:7]
	v_mul_f64 v[0:1], v[0:1], s[4:5]
	v_mul_f64 v[6:7], v[10:11], s[4:5]
	v_mov_b32_e32 v10, s1
	v_add_co_u32_e32 v8, vcc, s0, v8
	v_addc_co_u32_e32 v9, vcc, v9, v10, vcc
	global_store_dwordx2 v[8:9], v[4:5], off
	v_cvt_f32_f64_e32 v5, v[0:1]
	v_mul_f32_e32 v0, v16, v3
	v_fmac_f32_e32 v0, v15, v2
	v_mul_f32_e32 v2, v16, v2
	v_fma_f32 v2, v15, v3, -v2
	v_cvt_f32_f64_e32 v4, v[6:7]
	v_cvt_f64_f32_e32 v[0:1], v0
	v_cvt_f64_f32_e32 v[2:3], v2
	ds_read_b64 v[6:7], v27 offset:336
	v_add_co_u32_e32 v8, vcc, s0, v8
	v_addc_co_u32_e32 v9, vcc, v9, v10, vcc
	v_mul_f64 v[0:1], v[0:1], s[4:5]
	v_mul_f64 v[2:3], v[2:3], s[4:5]
	global_store_dwordx2 v[8:9], v[4:5], off
	s_waitcnt lgkmcnt(0)
	v_mul_f32_e32 v4, v14, v7
	v_fmac_f32_e32 v4, v13, v6
	v_mul_f32_e32 v6, v14, v6
	v_fma_f32 v6, v13, v7, -v6
	v_cvt_f64_f32_e32 v[4:5], v4
	v_cvt_f64_f32_e32 v[6:7], v6
	v_cvt_f32_f64_e32 v0, v[0:1]
	v_cvt_f32_f64_e32 v1, v[2:3]
	v_mul_f64 v[2:3], v[4:5], s[4:5]
	v_mul_f64 v[4:5], v[6:7], s[4:5]
	v_mov_b32_e32 v7, s1
	v_add_co_u32_e32 v6, vcc, s0, v8
	v_addc_co_u32_e32 v7, vcc, v9, v7, vcc
	global_store_dwordx2 v[6:7], v[0:1], off
	v_cvt_f32_f64_e32 v0, v[2:3]
	v_cvt_f32_f64_e32 v1, v[4:5]
	v_mov_b32_e32 v3, s1
	v_add_co_u32_e32 v2, vcc, s0, v6
	v_addc_co_u32_e32 v3, vcc, v7, v3, vcc
	global_store_dwordx2 v[2:3], v[0:1], off
.LBB0_2:
	s_endpgm
	.section	.rodata,"a",@progbits
	.p2align	6, 0x0
	.amdhsa_kernel bluestein_single_back_len49_dim1_sp_op_CI_CI
		.amdhsa_group_segment_fixed_size 3528
		.amdhsa_private_segment_fixed_size 0
		.amdhsa_kernarg_size 104
		.amdhsa_user_sgpr_count 6
		.amdhsa_user_sgpr_private_segment_buffer 1
		.amdhsa_user_sgpr_dispatch_ptr 0
		.amdhsa_user_sgpr_queue_ptr 0
		.amdhsa_user_sgpr_kernarg_segment_ptr 1
		.amdhsa_user_sgpr_dispatch_id 0
		.amdhsa_user_sgpr_flat_scratch_init 0
		.amdhsa_user_sgpr_private_segment_size 0
		.amdhsa_uses_dynamic_stack 0
		.amdhsa_system_sgpr_private_segment_wavefront_offset 0
		.amdhsa_system_sgpr_workgroup_id_x 1
		.amdhsa_system_sgpr_workgroup_id_y 0
		.amdhsa_system_sgpr_workgroup_id_z 0
		.amdhsa_system_sgpr_workgroup_info 0
		.amdhsa_system_vgpr_workitem_id 0
		.amdhsa_next_free_vgpr 58
		.amdhsa_next_free_sgpr 20
		.amdhsa_reserve_vcc 1
		.amdhsa_reserve_flat_scratch 0
		.amdhsa_float_round_mode_32 0
		.amdhsa_float_round_mode_16_64 0
		.amdhsa_float_denorm_mode_32 3
		.amdhsa_float_denorm_mode_16_64 3
		.amdhsa_dx10_clamp 1
		.amdhsa_ieee_mode 1
		.amdhsa_fp16_overflow 0
		.amdhsa_exception_fp_ieee_invalid_op 0
		.amdhsa_exception_fp_denorm_src 0
		.amdhsa_exception_fp_ieee_div_zero 0
		.amdhsa_exception_fp_ieee_overflow 0
		.amdhsa_exception_fp_ieee_underflow 0
		.amdhsa_exception_fp_ieee_inexact 0
		.amdhsa_exception_int_div_zero 0
	.end_amdhsa_kernel
	.text
.Lfunc_end0:
	.size	bluestein_single_back_len49_dim1_sp_op_CI_CI, .Lfunc_end0-bluestein_single_back_len49_dim1_sp_op_CI_CI
                                        ; -- End function
	.section	.AMDGPU.csdata,"",@progbits
; Kernel info:
; codeLenInByte = 4020
; NumSgprs: 24
; NumVgprs: 58
; ScratchSize: 0
; MemoryBound: 0
; FloatMode: 240
; IeeeMode: 1
; LDSByteSize: 3528 bytes/workgroup (compile time only)
; SGPRBlocks: 2
; VGPRBlocks: 14
; NumSGPRsForWavesPerEU: 24
; NumVGPRsForWavesPerEU: 58
; Occupancy: 4
; WaveLimiterHint : 1
; COMPUTE_PGM_RSRC2:SCRATCH_EN: 0
; COMPUTE_PGM_RSRC2:USER_SGPR: 6
; COMPUTE_PGM_RSRC2:TRAP_HANDLER: 0
; COMPUTE_PGM_RSRC2:TGID_X_EN: 1
; COMPUTE_PGM_RSRC2:TGID_Y_EN: 0
; COMPUTE_PGM_RSRC2:TGID_Z_EN: 0
; COMPUTE_PGM_RSRC2:TIDIG_COMP_CNT: 0
	.type	__hip_cuid_e544d6ebb5ceec73,@object ; @__hip_cuid_e544d6ebb5ceec73
	.section	.bss,"aw",@nobits
	.globl	__hip_cuid_e544d6ebb5ceec73
__hip_cuid_e544d6ebb5ceec73:
	.byte	0                               ; 0x0
	.size	__hip_cuid_e544d6ebb5ceec73, 1

	.ident	"AMD clang version 19.0.0git (https://github.com/RadeonOpenCompute/llvm-project roc-6.4.0 25133 c7fe45cf4b819c5991fe208aaa96edf142730f1d)"
	.section	".note.GNU-stack","",@progbits
	.addrsig
	.addrsig_sym __hip_cuid_e544d6ebb5ceec73
	.amdgpu_metadata
---
amdhsa.kernels:
  - .args:
      - .actual_access:  read_only
        .address_space:  global
        .offset:         0
        .size:           8
        .value_kind:     global_buffer
      - .actual_access:  read_only
        .address_space:  global
        .offset:         8
        .size:           8
        .value_kind:     global_buffer
      - .actual_access:  read_only
        .address_space:  global
        .offset:         16
        .size:           8
        .value_kind:     global_buffer
      - .actual_access:  read_only
        .address_space:  global
        .offset:         24
        .size:           8
        .value_kind:     global_buffer
      - .actual_access:  read_only
        .address_space:  global
        .offset:         32
        .size:           8
        .value_kind:     global_buffer
      - .offset:         40
        .size:           8
        .value_kind:     by_value
      - .address_space:  global
        .offset:         48
        .size:           8
        .value_kind:     global_buffer
      - .address_space:  global
        .offset:         56
        .size:           8
        .value_kind:     global_buffer
      - .address_space:  global
        .offset:         64
        .size:           8
        .value_kind:     global_buffer
      - .address_space:  global
        .offset:         72
        .size:           8
        .value_kind:     global_buffer
      - .offset:         80
        .size:           4
        .value_kind:     by_value
      - .address_space:  global
        .offset:         88
        .size:           8
        .value_kind:     global_buffer
      - .address_space:  global
        .offset:         96
        .size:           8
        .value_kind:     global_buffer
    .group_segment_fixed_size: 3528
    .kernarg_segment_align: 8
    .kernarg_segment_size: 104
    .language:       OpenCL C
    .language_version:
      - 2
      - 0
    .max_flat_workgroup_size: 63
    .name:           bluestein_single_back_len49_dim1_sp_op_CI_CI
    .private_segment_fixed_size: 0
    .sgpr_count:     24
    .sgpr_spill_count: 0
    .symbol:         bluestein_single_back_len49_dim1_sp_op_CI_CI.kd
    .uniform_work_group_size: 1
    .uses_dynamic_stack: false
    .vgpr_count:     58
    .vgpr_spill_count: 0
    .wavefront_size: 64
amdhsa.target:   amdgcn-amd-amdhsa--gfx906
amdhsa.version:
  - 1
  - 2
...

	.end_amdgpu_metadata
